;; amdgpu-corpus repo=ROCm/rocFFT kind=compiled arch=gfx1201 opt=O3
	.text
	.amdgcn_target "amdgcn-amd-amdhsa--gfx1201"
	.amdhsa_code_object_version 6
	.protected	fft_rtc_back_len400_factors_4_10_10_wgs_120_tpt_40_halfLds_dp_ip_CI_unitstride_sbrr_C2R_dirReg ; -- Begin function fft_rtc_back_len400_factors_4_10_10_wgs_120_tpt_40_halfLds_dp_ip_CI_unitstride_sbrr_C2R_dirReg
	.globl	fft_rtc_back_len400_factors_4_10_10_wgs_120_tpt_40_halfLds_dp_ip_CI_unitstride_sbrr_C2R_dirReg
	.p2align	8
	.type	fft_rtc_back_len400_factors_4_10_10_wgs_120_tpt_40_halfLds_dp_ip_CI_unitstride_sbrr_C2R_dirReg,@function
fft_rtc_back_len400_factors_4_10_10_wgs_120_tpt_40_halfLds_dp_ip_CI_unitstride_sbrr_C2R_dirReg: ; @fft_rtc_back_len400_factors_4_10_10_wgs_120_tpt_40_halfLds_dp_ip_CI_unitstride_sbrr_C2R_dirReg
; %bb.0:
	s_load_b128 s[4:7], s[0:1], 0x0
	v_mul_u32_u24_e32 v1, 0x667, v0
	s_clause 0x1
	s_load_b64 s[8:9], s[0:1], 0x50
	s_load_b64 s[10:11], s[0:1], 0x18
	v_mov_b32_e32 v5, 0
	v_lshrrev_b32_e32 v1, 16, v1
	s_delay_alu instid0(VALU_DEP_1) | instskip(SKIP_3) | instid1(VALU_DEP_1)
	v_mad_co_u64_u32 v[1:2], null, ttmp9, 3, v[1:2]
	v_mov_b32_e32 v3, 0
	v_mov_b32_e32 v4, 0
	;; [unrolled: 1-line block ×4, first 2 shown]
	s_wait_kmcnt 0x0
	v_cmp_lt_u64_e64 s2, s[6:7], 2
	v_mov_b32_e32 v9, v1
	s_delay_alu instid0(VALU_DEP_2)
	s_and_b32 vcc_lo, exec_lo, s2
	s_cbranch_vccnz .LBB0_8
; %bb.1:
	s_load_b64 s[2:3], s[0:1], 0x10
	v_dual_mov_b32 v3, 0 :: v_dual_mov_b32 v8, v2
	v_dual_mov_b32 v4, 0 :: v_dual_mov_b32 v7, v1
	s_add_nc_u64 s[12:13], s[10:11], 8
	s_mov_b64 s[14:15], 1
	s_wait_kmcnt 0x0
	s_add_nc_u64 s[16:17], s[2:3], 8
	s_mov_b32 s3, 0
.LBB0_2:                                ; =>This Inner Loop Header: Depth=1
	s_load_b64 s[18:19], s[16:17], 0x0
                                        ; implicit-def: $vgpr9_vgpr10
	s_mov_b32 s2, exec_lo
	s_wait_kmcnt 0x0
	v_or_b32_e32 v6, s19, v8
	s_delay_alu instid0(VALU_DEP_1)
	v_cmpx_ne_u64_e32 0, v[5:6]
	s_wait_alu 0xfffe
	s_xor_b32 s20, exec_lo, s2
	s_cbranch_execz .LBB0_4
; %bb.3:                                ;   in Loop: Header=BB0_2 Depth=1
	s_cvt_f32_u32 s2, s18
	s_cvt_f32_u32 s21, s19
	s_sub_nc_u64 s[24:25], 0, s[18:19]
	s_wait_alu 0xfffe
	s_delay_alu instid0(SALU_CYCLE_1) | instskip(SKIP_1) | instid1(SALU_CYCLE_2)
	s_fmamk_f32 s2, s21, 0x4f800000, s2
	s_wait_alu 0xfffe
	v_s_rcp_f32 s2, s2
	s_delay_alu instid0(TRANS32_DEP_1) | instskip(SKIP_1) | instid1(SALU_CYCLE_2)
	s_mul_f32 s2, s2, 0x5f7ffffc
	s_wait_alu 0xfffe
	s_mul_f32 s21, s2, 0x2f800000
	s_wait_alu 0xfffe
	s_delay_alu instid0(SALU_CYCLE_2) | instskip(SKIP_1) | instid1(SALU_CYCLE_2)
	s_trunc_f32 s21, s21
	s_wait_alu 0xfffe
	s_fmamk_f32 s2, s21, 0xcf800000, s2
	s_cvt_u32_f32 s23, s21
	s_wait_alu 0xfffe
	s_delay_alu instid0(SALU_CYCLE_1) | instskip(SKIP_1) | instid1(SALU_CYCLE_2)
	s_cvt_u32_f32 s22, s2
	s_wait_alu 0xfffe
	s_mul_u64 s[26:27], s[24:25], s[22:23]
	s_wait_alu 0xfffe
	s_mul_hi_u32 s29, s22, s27
	s_mul_i32 s28, s22, s27
	s_mul_hi_u32 s2, s22, s26
	s_mul_i32 s30, s23, s26
	s_wait_alu 0xfffe
	s_add_nc_u64 s[28:29], s[2:3], s[28:29]
	s_mul_hi_u32 s21, s23, s26
	s_mul_hi_u32 s31, s23, s27
	s_add_co_u32 s2, s28, s30
	s_wait_alu 0xfffe
	s_add_co_ci_u32 s2, s29, s21
	s_mul_i32 s26, s23, s27
	s_add_co_ci_u32 s27, s31, 0
	s_wait_alu 0xfffe
	s_add_nc_u64 s[26:27], s[2:3], s[26:27]
	s_wait_alu 0xfffe
	v_add_co_u32 v2, s2, s22, s26
	s_delay_alu instid0(VALU_DEP_1) | instskip(SKIP_1) | instid1(VALU_DEP_1)
	s_cmp_lg_u32 s2, 0
	s_add_co_ci_u32 s23, s23, s27
	v_readfirstlane_b32 s22, v2
	s_wait_alu 0xfffe
	s_delay_alu instid0(VALU_DEP_1)
	s_mul_u64 s[24:25], s[24:25], s[22:23]
	s_wait_alu 0xfffe
	s_mul_hi_u32 s27, s22, s25
	s_mul_i32 s26, s22, s25
	s_mul_hi_u32 s2, s22, s24
	s_mul_i32 s28, s23, s24
	s_wait_alu 0xfffe
	s_add_nc_u64 s[26:27], s[2:3], s[26:27]
	s_mul_hi_u32 s21, s23, s24
	s_mul_hi_u32 s22, s23, s25
	s_wait_alu 0xfffe
	s_add_co_u32 s2, s26, s28
	s_add_co_ci_u32 s2, s27, s21
	s_mul_i32 s24, s23, s25
	s_add_co_ci_u32 s25, s22, 0
	s_wait_alu 0xfffe
	s_add_nc_u64 s[24:25], s[2:3], s[24:25]
	s_wait_alu 0xfffe
	v_add_co_u32 v2, s2, v2, s24
	s_delay_alu instid0(VALU_DEP_1) | instskip(SKIP_1) | instid1(VALU_DEP_1)
	s_cmp_lg_u32 s2, 0
	s_add_co_ci_u32 s2, s23, s25
	v_mul_hi_u32 v6, v7, v2
	s_wait_alu 0xfffe
	v_mad_co_u64_u32 v[9:10], null, v7, s2, 0
	v_mad_co_u64_u32 v[11:12], null, v8, v2, 0
	;; [unrolled: 1-line block ×3, first 2 shown]
	s_delay_alu instid0(VALU_DEP_3) | instskip(SKIP_1) | instid1(VALU_DEP_4)
	v_add_co_u32 v2, vcc_lo, v6, v9
	s_wait_alu 0xfffd
	v_add_co_ci_u32_e32 v6, vcc_lo, 0, v10, vcc_lo
	s_delay_alu instid0(VALU_DEP_2) | instskip(SKIP_1) | instid1(VALU_DEP_2)
	v_add_co_u32 v2, vcc_lo, v2, v11
	s_wait_alu 0xfffd
	v_add_co_ci_u32_e32 v2, vcc_lo, v6, v12, vcc_lo
	s_wait_alu 0xfffd
	v_add_co_ci_u32_e32 v6, vcc_lo, 0, v14, vcc_lo
	s_delay_alu instid0(VALU_DEP_2) | instskip(SKIP_1) | instid1(VALU_DEP_2)
	v_add_co_u32 v2, vcc_lo, v2, v13
	s_wait_alu 0xfffd
	v_add_co_ci_u32_e32 v6, vcc_lo, 0, v6, vcc_lo
	s_delay_alu instid0(VALU_DEP_2) | instskip(SKIP_1) | instid1(VALU_DEP_3)
	v_mul_lo_u32 v11, s19, v2
	v_mad_co_u64_u32 v[9:10], null, s18, v2, 0
	v_mul_lo_u32 v12, s18, v6
	s_delay_alu instid0(VALU_DEP_2) | instskip(NEXT) | instid1(VALU_DEP_2)
	v_sub_co_u32 v9, vcc_lo, v7, v9
	v_add3_u32 v10, v10, v12, v11
	s_delay_alu instid0(VALU_DEP_1) | instskip(SKIP_1) | instid1(VALU_DEP_1)
	v_sub_nc_u32_e32 v11, v8, v10
	s_wait_alu 0xfffd
	v_subrev_co_ci_u32_e64 v11, s2, s19, v11, vcc_lo
	v_add_co_u32 v12, s2, v2, 2
	s_wait_alu 0xf1ff
	v_add_co_ci_u32_e64 v13, s2, 0, v6, s2
	v_sub_co_u32 v14, s2, v9, s18
	v_sub_co_ci_u32_e32 v10, vcc_lo, v8, v10, vcc_lo
	s_wait_alu 0xf1ff
	v_subrev_co_ci_u32_e64 v11, s2, 0, v11, s2
	s_delay_alu instid0(VALU_DEP_3) | instskip(NEXT) | instid1(VALU_DEP_3)
	v_cmp_le_u32_e32 vcc_lo, s18, v14
	v_cmp_eq_u32_e64 s2, s19, v10
	s_wait_alu 0xfffd
	v_cndmask_b32_e64 v14, 0, -1, vcc_lo
	v_cmp_le_u32_e32 vcc_lo, s19, v11
	s_wait_alu 0xfffd
	v_cndmask_b32_e64 v15, 0, -1, vcc_lo
	v_cmp_le_u32_e32 vcc_lo, s18, v9
	;; [unrolled: 3-line block ×3, first 2 shown]
	s_wait_alu 0xfffd
	v_cndmask_b32_e64 v16, 0, -1, vcc_lo
	v_cmp_eq_u32_e32 vcc_lo, s19, v11
	s_wait_alu 0xf1ff
	s_delay_alu instid0(VALU_DEP_2)
	v_cndmask_b32_e64 v9, v16, v9, s2
	s_wait_alu 0xfffd
	v_cndmask_b32_e32 v11, v15, v14, vcc_lo
	v_add_co_u32 v14, vcc_lo, v2, 1
	s_wait_alu 0xfffd
	v_add_co_ci_u32_e32 v15, vcc_lo, 0, v6, vcc_lo
	s_delay_alu instid0(VALU_DEP_3) | instskip(SKIP_1) | instid1(VALU_DEP_2)
	v_cmp_ne_u32_e32 vcc_lo, 0, v11
	s_wait_alu 0xfffd
	v_dual_cndmask_b32 v10, v15, v13 :: v_dual_cndmask_b32 v11, v14, v12
	v_cmp_ne_u32_e32 vcc_lo, 0, v9
	s_wait_alu 0xfffd
	s_delay_alu instid0(VALU_DEP_2) | instskip(NEXT) | instid1(VALU_DEP_3)
	v_cndmask_b32_e32 v10, v6, v10, vcc_lo
	v_cndmask_b32_e32 v9, v2, v11, vcc_lo
.LBB0_4:                                ;   in Loop: Header=BB0_2 Depth=1
	s_wait_alu 0xfffe
	s_and_not1_saveexec_b32 s2, s20
	s_cbranch_execz .LBB0_6
; %bb.5:                                ;   in Loop: Header=BB0_2 Depth=1
	v_cvt_f32_u32_e32 v2, s18
	s_sub_co_i32 s20, 0, s18
	s_delay_alu instid0(VALU_DEP_1) | instskip(NEXT) | instid1(TRANS32_DEP_1)
	v_rcp_iflag_f32_e32 v2, v2
	v_mul_f32_e32 v2, 0x4f7ffffe, v2
	s_delay_alu instid0(VALU_DEP_1) | instskip(SKIP_1) | instid1(VALU_DEP_1)
	v_cvt_u32_f32_e32 v2, v2
	s_wait_alu 0xfffe
	v_mul_lo_u32 v6, s20, v2
	s_delay_alu instid0(VALU_DEP_1) | instskip(NEXT) | instid1(VALU_DEP_1)
	v_mul_hi_u32 v6, v2, v6
	v_add_nc_u32_e32 v2, v2, v6
	s_delay_alu instid0(VALU_DEP_1) | instskip(NEXT) | instid1(VALU_DEP_1)
	v_mul_hi_u32 v2, v7, v2
	v_mul_lo_u32 v6, v2, s18
	v_add_nc_u32_e32 v9, 1, v2
	s_delay_alu instid0(VALU_DEP_2) | instskip(NEXT) | instid1(VALU_DEP_1)
	v_sub_nc_u32_e32 v6, v7, v6
	v_subrev_nc_u32_e32 v10, s18, v6
	v_cmp_le_u32_e32 vcc_lo, s18, v6
	s_wait_alu 0xfffd
	s_delay_alu instid0(VALU_DEP_2) | instskip(SKIP_2) | instid1(VALU_DEP_3)
	v_cndmask_b32_e32 v6, v6, v10, vcc_lo
	v_mov_b32_e32 v10, v5
	v_cndmask_b32_e32 v2, v2, v9, vcc_lo
	v_cmp_le_u32_e32 vcc_lo, s18, v6
	s_delay_alu instid0(VALU_DEP_2) | instskip(SKIP_1) | instid1(VALU_DEP_1)
	v_add_nc_u32_e32 v9, 1, v2
	s_wait_alu 0xfffd
	v_cndmask_b32_e32 v9, v2, v9, vcc_lo
.LBB0_6:                                ;   in Loop: Header=BB0_2 Depth=1
	s_wait_alu 0xfffe
	s_or_b32 exec_lo, exec_lo, s2
	s_load_b64 s[20:21], s[12:13], 0x0
	v_mul_lo_u32 v2, v10, s18
	v_mul_lo_u32 v6, v9, s19
	v_mad_co_u64_u32 v[11:12], null, v9, s18, 0
	s_add_nc_u64 s[14:15], s[14:15], 1
	s_add_nc_u64 s[12:13], s[12:13], 8
	s_wait_alu 0xfffe
	v_cmp_ge_u64_e64 s2, s[14:15], s[6:7]
	s_add_nc_u64 s[16:17], s[16:17], 8
	s_delay_alu instid0(VALU_DEP_2) | instskip(NEXT) | instid1(VALU_DEP_3)
	v_add3_u32 v2, v12, v6, v2
	v_sub_co_u32 v6, vcc_lo, v7, v11
	s_wait_alu 0xfffd
	s_delay_alu instid0(VALU_DEP_2) | instskip(SKIP_3) | instid1(VALU_DEP_2)
	v_sub_co_ci_u32_e32 v2, vcc_lo, v8, v2, vcc_lo
	s_and_b32 vcc_lo, exec_lo, s2
	s_wait_kmcnt 0x0
	v_mul_lo_u32 v7, s21, v6
	v_mul_lo_u32 v2, s20, v2
	v_mad_co_u64_u32 v[3:4], null, s20, v6, v[3:4]
	s_delay_alu instid0(VALU_DEP_1)
	v_add3_u32 v4, v7, v4, v2
	s_wait_alu 0xfffe
	s_cbranch_vccnz .LBB0_8
; %bb.7:                                ;   in Loop: Header=BB0_2 Depth=1
	v_dual_mov_b32 v7, v9 :: v_dual_mov_b32 v8, v10
	s_branch .LBB0_2
.LBB0_8:
	s_lshl_b64 s[2:3], s[6:7], 3
	v_mul_hi_u32 v2, 0xaaaaaaab, v1
	s_wait_alu 0xfffe
	s_add_nc_u64 s[2:3], s[10:11], s[2:3]
	s_load_b64 s[0:1], s[0:1], 0x20
	s_load_b64 s[2:3], s[2:3], 0x0
	v_mul_hi_u32 v5, 0x6666667, v0
	s_delay_alu instid0(VALU_DEP_2) | instskip(NEXT) | instid1(VALU_DEP_2)
	v_lshrrev_b32_e32 v2, 1, v2
	v_mul_u32_u24_e32 v5, 40, v5
	s_delay_alu instid0(VALU_DEP_2) | instskip(NEXT) | instid1(VALU_DEP_2)
	v_lshl_add_u32 v2, v2, 1, v2
	v_sub_nc_u32_e32 v16, v0, v5
	s_delay_alu instid0(VALU_DEP_2)
	v_sub_nc_u32_e32 v1, v1, v2
	s_wait_kmcnt 0x0
	v_cmp_gt_u64_e32 vcc_lo, s[0:1], v[9:10]
	v_mul_lo_u32 v6, s2, v10
	v_mul_lo_u32 v7, s3, v9
	v_mad_co_u64_u32 v[3:4], null, s2, v9, v[3:4]
	v_mul_u32_u24_e32 v2, 0x191, v1
	s_delay_alu instid0(VALU_DEP_1) | instskip(NEXT) | instid1(VALU_DEP_3)
	v_lshlrev_b32_e32 v22, 4, v2
	v_add3_u32 v4, v7, v4, v6
	s_delay_alu instid0(VALU_DEP_1)
	v_lshlrev_b64_e32 v[18:19], 4, v[3:4]
	s_and_saveexec_b32 s1, vcc_lo
	s_cbranch_execz .LBB0_12
; %bb.9:
	v_mov_b32_e32 v17, 0
	s_delay_alu instid0(VALU_DEP_2) | instskip(SKIP_2) | instid1(VALU_DEP_3)
	v_add_co_u32 v0, s0, s8, v18
	s_wait_alu 0xf1ff
	v_add_co_ci_u32_e64 v1, s0, s9, v19, s0
	v_lshlrev_b64_e32 v[3:4], 4, v[16:17]
	s_mov_b32 s2, exec_lo
	s_delay_alu instid0(VALU_DEP_1) | instskip(SKIP_1) | instid1(VALU_DEP_2)
	v_add_co_u32 v20, s0, v0, v3
	s_wait_alu 0xf1ff
	v_add_co_ci_u32_e64 v21, s0, v1, v4, s0
	v_lshlrev_b32_e32 v3, 4, v16
	s_clause 0x9
	global_load_b128 v[4:7], v[20:21], off
	global_load_b128 v[8:11], v[20:21], off offset:640
	global_load_b128 v[12:15], v[20:21], off offset:1280
	;; [unrolled: 1-line block ×9, first 2 shown]
	v_add3_u32 v3, 0, v22, v3
	s_wait_loadcnt 0x9
	ds_store_b128 v3, v[4:7]
	s_wait_loadcnt 0x8
	ds_store_b128 v3, v[8:11] offset:640
	s_wait_loadcnt 0x7
	ds_store_b128 v3, v[12:15] offset:1280
	;; [unrolled: 2-line block ×9, first 2 shown]
	v_cmpx_eq_u32_e32 39, v16
	s_cbranch_execz .LBB0_11
; %bb.10:
	global_load_b128 v[4:7], v[0:1], off offset:6400
	v_mov_b32_e32 v16, 39
	s_wait_loadcnt 0x0
	ds_store_b128 v3, v[4:7] offset:5776
.LBB0_11:
	s_wait_alu 0xfffe
	s_or_b32 exec_lo, exec_lo, s2
.LBB0_12:
	s_wait_alu 0xfffe
	s_or_b32 exec_lo, exec_lo, s1
	v_lshl_add_u32 v20, v2, 4, 0
	v_lshlrev_b32_e32 v10, 4, v16
	global_wb scope:SCOPE_SE
	s_wait_dscnt 0x0
	s_barrier_signal -1
	s_barrier_wait -1
	global_inv scope:SCOPE_SE
	v_add_nc_u32_e32 v21, v20, v10
	v_sub_nc_u32_e32 v11, v20, v10
	s_mov_b32 s1, exec_lo
                                        ; implicit-def: $vgpr4_vgpr5
	ds_load_b64 v[6:7], v21
	ds_load_b64 v[8:9], v11 offset:6400
	s_wait_dscnt 0x0
	v_add_f64_e32 v[0:1], v[6:7], v[8:9]
	v_add_f64_e64 v[2:3], v[6:7], -v[8:9]
	v_cmpx_ne_u32_e32 0, v16
	s_wait_alu 0xfffe
	s_xor_b32 s1, exec_lo, s1
	s_cbranch_execz .LBB0_14
; %bb.13:
	v_mov_b32_e32 v17, 0
	v_add_f64_e32 v[14:15], v[6:7], v[8:9]
	v_add_f64_e64 v[23:24], v[6:7], -v[8:9]
	s_delay_alu instid0(VALU_DEP_3) | instskip(NEXT) | instid1(VALU_DEP_1)
	v_lshlrev_b64_e32 v[0:1], 4, v[16:17]
	v_add_co_u32 v0, s0, s4, v0
	s_wait_alu 0xf1ff
	s_delay_alu instid0(VALU_DEP_2)
	v_add_co_ci_u32_e64 v1, s0, s5, v1, s0
	global_load_b128 v[2:5], v[0:1], off offset:6336
	ds_load_b64 v[0:1], v11 offset:6408
	ds_load_b64 v[12:13], v21 offset:8
	s_wait_dscnt 0x0
	v_add_f64_e32 v[6:7], v[0:1], v[12:13]
	v_add_f64_e64 v[0:1], v[12:13], -v[0:1]
	s_wait_loadcnt 0x0
	v_fma_f64 v[8:9], v[23:24], v[4:5], v[14:15]
	v_fma_f64 v[12:13], -v[23:24], v[4:5], v[14:15]
	s_delay_alu instid0(VALU_DEP_3) | instskip(SKIP_1) | instid1(VALU_DEP_4)
	v_fma_f64 v[14:15], v[6:7], v[4:5], -v[0:1]
	v_fma_f64 v[4:5], v[6:7], v[4:5], v[0:1]
	v_fma_f64 v[0:1], -v[6:7], v[2:3], v[8:9]
	s_delay_alu instid0(VALU_DEP_4) | instskip(NEXT) | instid1(VALU_DEP_4)
	v_fma_f64 v[6:7], v[6:7], v[2:3], v[12:13]
	v_fma_f64 v[8:9], v[23:24], v[2:3], v[14:15]
	s_delay_alu instid0(VALU_DEP_4)
	v_fma_f64 v[2:3], v[23:24], v[2:3], v[4:5]
	v_dual_mov_b32 v4, v16 :: v_dual_mov_b32 v5, v17
	ds_store_b128 v11, v[6:9] offset:6400
.LBB0_14:
	s_wait_alu 0xfffe
	s_and_not1_saveexec_b32 s0, s1
	s_cbranch_execz .LBB0_16
; %bb.15:
	ds_load_b128 v[4:7], v20 offset:3200
	s_wait_dscnt 0x0
	v_add_f64_e32 v[12:13], v[4:5], v[4:5]
	v_mul_f64_e32 v[14:15], -2.0, v[6:7]
	v_mov_b32_e32 v4, 0
	v_mov_b32_e32 v5, 0
	ds_store_b128 v20, v[12:15] offset:3200
.LBB0_16:
	s_wait_alu 0xfffe
	s_or_b32 exec_lo, exec_lo, s0
	v_lshlrev_b64_e32 v[4:5], 4, v[4:5]
	s_add_nc_u64 s[0:1], s[4:5], 0x18c0
	v_add3_u32 v17, 0, v10, v22
	s_wait_alu 0xfffe
	s_delay_alu instid0(VALU_DEP_2)
	v_add_co_u32 v31, s0, s0, v4
	s_wait_alu 0xf1ff
	v_add_co_ci_u32_e64 v32, s0, s1, v5, s0
	s_mov_b32 s1, exec_lo
	s_clause 0x1
	global_load_b128 v[4:7], v[31:32], off offset:640
	global_load_b128 v[12:15], v[31:32], off offset:1280
	ds_store_b128 v21, v[0:3]
	ds_load_b128 v[0:3], v21 offset:640
	ds_load_b128 v[23:26], v11 offset:5760
	global_load_b128 v[27:30], v[31:32], off offset:1920
	s_wait_dscnt 0x0
	v_add_f64_e32 v[8:9], v[0:1], v[23:24]
	v_add_f64_e32 v[33:34], v[25:26], v[2:3]
	v_add_f64_e64 v[23:24], v[0:1], -v[23:24]
	v_add_f64_e64 v[0:1], v[2:3], -v[25:26]
	s_wait_loadcnt 0x2
	s_delay_alu instid0(VALU_DEP_2) | instskip(NEXT) | instid1(VALU_DEP_2)
	v_fma_f64 v[2:3], v[23:24], v[6:7], v[8:9]
	v_fma_f64 v[25:26], v[33:34], v[6:7], v[0:1]
	v_fma_f64 v[8:9], -v[23:24], v[6:7], v[8:9]
	v_fma_f64 v[35:36], v[33:34], v[6:7], -v[0:1]
	s_delay_alu instid0(VALU_DEP_4) | instskip(NEXT) | instid1(VALU_DEP_4)
	v_fma_f64 v[0:1], -v[33:34], v[4:5], v[2:3]
	v_fma_f64 v[2:3], v[23:24], v[4:5], v[25:26]
	s_delay_alu instid0(VALU_DEP_4) | instskip(NEXT) | instid1(VALU_DEP_4)
	v_fma_f64 v[6:7], v[33:34], v[4:5], v[8:9]
	v_fma_f64 v[8:9], v[23:24], v[4:5], v[35:36]
	ds_store_b128 v21, v[0:3] offset:640
	ds_store_b128 v11, v[6:9] offset:5760
	ds_load_b128 v[0:3], v21 offset:1280
	ds_load_b128 v[4:7], v11 offset:5120
	global_load_b128 v[23:26], v[31:32], off offset:2560
	s_wait_dscnt 0x0
	v_add_f64_e32 v[8:9], v[0:1], v[4:5]
	v_add_f64_e32 v[31:32], v[6:7], v[2:3]
	v_add_f64_e64 v[33:34], v[0:1], -v[4:5]
	v_add_f64_e64 v[0:1], v[2:3], -v[6:7]
	s_wait_loadcnt 0x2
	s_delay_alu instid0(VALU_DEP_2) | instskip(NEXT) | instid1(VALU_DEP_2)
	v_fma_f64 v[2:3], v[33:34], v[14:15], v[8:9]
	v_fma_f64 v[4:5], v[31:32], v[14:15], v[0:1]
	v_fma_f64 v[6:7], -v[33:34], v[14:15], v[8:9]
	v_fma_f64 v[8:9], v[31:32], v[14:15], -v[0:1]
	s_delay_alu instid0(VALU_DEP_4) | instskip(NEXT) | instid1(VALU_DEP_4)
	v_fma_f64 v[0:1], -v[31:32], v[12:13], v[2:3]
	v_fma_f64 v[2:3], v[33:34], v[12:13], v[4:5]
	s_delay_alu instid0(VALU_DEP_4) | instskip(NEXT) | instid1(VALU_DEP_4)
	v_fma_f64 v[4:5], v[31:32], v[12:13], v[6:7]
	v_fma_f64 v[6:7], v[33:34], v[12:13], v[8:9]
	ds_store_b128 v21, v[0:3] offset:1280
	ds_store_b128 v11, v[4:7] offset:5120
	ds_load_b128 v[0:3], v21 offset:1920
	ds_load_b128 v[4:7], v11 offset:4480
	s_wait_dscnt 0x0
	v_add_f64_e32 v[8:9], v[0:1], v[4:5]
	v_add_f64_e32 v[12:13], v[6:7], v[2:3]
	v_add_f64_e64 v[14:15], v[0:1], -v[4:5]
	v_add_f64_e64 v[0:1], v[2:3], -v[6:7]
	s_wait_loadcnt 0x1
	s_delay_alu instid0(VALU_DEP_2) | instskip(NEXT) | instid1(VALU_DEP_2)
	v_fma_f64 v[2:3], v[14:15], v[29:30], v[8:9]
	v_fma_f64 v[4:5], v[12:13], v[29:30], v[0:1]
	v_fma_f64 v[6:7], -v[14:15], v[29:30], v[8:9]
	v_fma_f64 v[8:9], v[12:13], v[29:30], -v[0:1]
	s_delay_alu instid0(VALU_DEP_4) | instskip(NEXT) | instid1(VALU_DEP_4)
	v_fma_f64 v[0:1], -v[12:13], v[27:28], v[2:3]
	v_fma_f64 v[2:3], v[14:15], v[27:28], v[4:5]
	s_delay_alu instid0(VALU_DEP_4) | instskip(NEXT) | instid1(VALU_DEP_4)
	v_fma_f64 v[4:5], v[12:13], v[27:28], v[6:7]
	v_fma_f64 v[6:7], v[14:15], v[27:28], v[8:9]
	ds_store_b128 v21, v[0:3] offset:1920
	ds_store_b128 v11, v[4:7] offset:4480
	ds_load_b128 v[0:3], v21 offset:2560
	ds_load_b128 v[4:7], v11 offset:3840
	s_wait_dscnt 0x0
	v_add_f64_e32 v[8:9], v[0:1], v[4:5]
	v_add_f64_e32 v[12:13], v[6:7], v[2:3]
	v_add_f64_e64 v[14:15], v[0:1], -v[4:5]
	v_add_f64_e64 v[0:1], v[2:3], -v[6:7]
	s_wait_loadcnt 0x0
	s_delay_alu instid0(VALU_DEP_2) | instskip(NEXT) | instid1(VALU_DEP_2)
	v_fma_f64 v[2:3], v[14:15], v[25:26], v[8:9]
	v_fma_f64 v[4:5], v[12:13], v[25:26], v[0:1]
	v_fma_f64 v[6:7], -v[14:15], v[25:26], v[8:9]
	v_fma_f64 v[8:9], v[12:13], v[25:26], -v[0:1]
	s_delay_alu instid0(VALU_DEP_4) | instskip(NEXT) | instid1(VALU_DEP_4)
	v_fma_f64 v[0:1], -v[12:13], v[23:24], v[2:3]
	v_fma_f64 v[2:3], v[14:15], v[23:24], v[4:5]
	s_delay_alu instid0(VALU_DEP_4) | instskip(NEXT) | instid1(VALU_DEP_4)
	v_fma_f64 v[4:5], v[12:13], v[23:24], v[6:7]
	v_fma_f64 v[6:7], v[14:15], v[23:24], v[8:9]
	ds_store_b128 v21, v[0:3] offset:2560
	ds_store_b128 v11, v[4:7] offset:3840
	global_wb scope:SCOPE_SE
	s_wait_dscnt 0x0
	s_barrier_signal -1
	s_barrier_wait -1
	global_inv scope:SCOPE_SE
	global_wb scope:SCOPE_SE
	s_barrier_signal -1
	s_barrier_wait -1
	global_inv scope:SCOPE_SE
	ds_load_b128 v[23:26], v17 offset:3200
	ds_load_b128 v[27:30], v21
	ds_load_b128 v[31:34], v17 offset:1600
	ds_load_b128 v[35:38], v17 offset:4800
	ds_load_b128 v[39:42], v17 offset:640
	ds_load_b128 v[43:46], v17 offset:3840
	ds_load_b128 v[47:50], v17 offset:2240
	ds_load_b128 v[51:54], v17 offset:5440
	ds_load_b128 v[0:3], v17 offset:1280
	ds_load_b128 v[4:7], v17 offset:2880
	ds_load_b128 v[8:11], v17 offset:4480
	ds_load_b128 v[12:15], v17 offset:6080
	global_wb scope:SCOPE_SE
	s_wait_dscnt 0x0
	s_barrier_signal -1
	s_barrier_wait -1
	global_inv scope:SCOPE_SE
	v_add_f64_e64 v[55:56], v[27:28], -v[23:24]
	v_add_f64_e64 v[57:58], v[29:30], -v[25:26]
	v_add_f64_e64 v[35:36], v[31:32], -v[35:36]
	v_add_f64_e64 v[23:24], v[33:34], -v[37:38]
	v_add_f64_e64 v[59:60], v[39:40], -v[43:44]
	v_add_f64_e64 v[61:62], v[41:42], -v[45:46]
	v_add_f64_e64 v[43:44], v[47:48], -v[51:52]
	v_add_f64_e64 v[37:38], v[49:50], -v[53:54]
	v_fma_f64 v[51:52], v[27:28], 2.0, -v[55:56]
	v_fma_f64 v[53:54], v[29:30], 2.0, -v[57:58]
	;; [unrolled: 1-line block ×8, first 2 shown]
	v_add_f64_e64 v[26:27], v[57:58], -v[35:36]
	v_add_f64_e32 v[24:25], v[55:56], v[23:24]
	v_add_f64_e32 v[28:29], v[59:60], v[37:38]
	v_lshlrev_b32_e32 v23, 6, v16
	s_delay_alu instid0(VALU_DEP_1)
	v_add3_u32 v23, v23, 0, v22
	v_add_f64_e64 v[32:33], v[51:52], -v[30:31]
	v_add_f64_e64 v[34:35], v[53:54], -v[45:46]
	;; [unrolled: 1-line block ×5, first 2 shown]
	v_fma_f64 v[42:43], v[57:58], 2.0, -v[26:27]
	v_fma_f64 v[40:41], v[55:56], 2.0, -v[24:25]
	;; [unrolled: 1-line block ×3, first 2 shown]
	v_mad_u32_u24 v56, v16, 48, v17
	v_fma_f64 v[48:49], v[51:52], 2.0, -v[32:33]
	v_fma_f64 v[50:51], v[53:54], 2.0, -v[34:35]
	;; [unrolled: 1-line block ×5, first 2 shown]
	ds_store_b128 v56, v[32:35] offset:32
	ds_store_b128 v56, v[24:27] offset:48
	ds_store_b128 v56, v[48:51]
	ds_store_b128 v56, v[40:43] offset:16
	ds_store_b128 v23, v[52:55] offset:2560
	;; [unrolled: 1-line block ×5, first 2 shown]
	v_cmpx_gt_u32_e32 20, v16
	s_cbranch_execz .LBB0_18
; %bb.17:
	v_add_f64_e64 v[10:11], v[2:3], -v[10:11]
	v_add_f64_e64 v[14:15], v[6:7], -v[14:15]
	v_add_f64_e64 v[8:9], v[0:1], -v[8:9]
	v_add_f64_e64 v[12:13], v[4:5], -v[12:13]
	s_delay_alu instid0(VALU_DEP_4) | instskip(NEXT) | instid1(VALU_DEP_4)
	v_fma_f64 v[24:25], v[2:3], 2.0, -v[10:11]
	v_fma_f64 v[6:7], v[6:7], 2.0, -v[14:15]
	s_delay_alu instid0(VALU_DEP_4) | instskip(NEXT) | instid1(VALU_DEP_4)
	v_fma_f64 v[26:27], v[0:1], 2.0, -v[8:9]
	v_fma_f64 v[0:1], v[4:5], 2.0, -v[12:13]
	v_add_f64_e64 v[2:3], v[10:11], -v[12:13]
	s_delay_alu instid0(VALU_DEP_4) | instskip(NEXT) | instid1(VALU_DEP_3)
	v_add_f64_e64 v[6:7], v[24:25], -v[6:7]
	v_add_f64_e64 v[4:5], v[26:27], -v[0:1]
	v_add_f64_e32 v[0:1], v[8:9], v[14:15]
	s_delay_alu instid0(VALU_DEP_4) | instskip(NEXT) | instid1(VALU_DEP_4)
	v_fma_f64 v[10:11], v[10:11], 2.0, -v[2:3]
	v_fma_f64 v[14:15], v[24:25], 2.0, -v[6:7]
	s_delay_alu instid0(VALU_DEP_4) | instskip(NEXT) | instid1(VALU_DEP_4)
	v_fma_f64 v[12:13], v[26:27], 2.0, -v[4:5]
	v_fma_f64 v[8:9], v[8:9], 2.0, -v[0:1]
	ds_store_b128 v23, v[12:15] offset:5120
	ds_store_b128 v23, v[8:11] offset:5136
	;; [unrolled: 1-line block ×4, first 2 shown]
.LBB0_18:
	s_wait_alu 0xfffe
	s_or_b32 exec_lo, exec_lo, s1
	v_and_b32_e32 v0, 3, v16
	global_wb scope:SCOPE_SE
	s_wait_dscnt 0x0
	s_barrier_signal -1
	s_barrier_wait -1
	global_inv scope:SCOPE_SE
	v_mul_u32_u24_e32 v1, 9, v0
	s_mov_b32 s10, 0x134454ff
	s_mov_b32 s11, 0xbfee6f0e
	;; [unrolled: 1-line block ×4, first 2 shown]
	v_lshlrev_b32_e32 v13, 4, v1
	s_mov_b32 s12, 0x4755a5e
	s_mov_b32 s13, 0xbfe2cf23
	;; [unrolled: 1-line block ×4, first 2 shown]
	s_clause 0x8
	global_load_b128 v[1:4], v13, s[4:5] offset:32
	global_load_b128 v[5:8], v13, s[4:5] offset:128
	;; [unrolled: 1-line block ×4, first 2 shown]
	global_load_b128 v[27:30], v13, s[4:5]
	global_load_b128 v[31:34], v13, s[4:5] offset:16
	global_load_b128 v[35:38], v13, s[4:5] offset:48
	;; [unrolled: 1-line block ×4, first 2 shown]
	ds_load_b128 v[47:50], v17 offset:1920
	ds_load_b128 v[51:54], v17 offset:5760
	;; [unrolled: 1-line block ×5, first 2 shown]
	s_mov_b32 s6, 0x372fe950
	s_mov_b32 s7, 0x3fd3c6ef
	;; [unrolled: 1-line block ×5, first 2 shown]
	s_wait_alu 0xfffe
	s_mov_b32 s16, s6
	s_mov_b32 s19, 0xbfe9e377
	;; [unrolled: 1-line block ×3, first 2 shown]
	s_wait_loadcnt_dscnt 0x804
	v_mul_f64_e32 v[75:76], v[47:48], v[3:4]
	s_wait_loadcnt_dscnt 0x703
	v_mul_f64_e32 v[77:78], v[51:52], v[7:8]
	;; [unrolled: 2-line block ×4, first 2 shown]
	v_mul_f64_e32 v[3:4], v[49:50], v[3:4]
	v_mul_f64_e32 v[83:84], v[57:58], v[11:12]
	ds_load_b128 v[11:14], v17 offset:1280
	v_mul_f64_e32 v[25:26], v[61:62], v[25:26]
	v_mul_f64_e32 v[7:8], v[53:54], v[7:8]
	s_wait_loadcnt_dscnt 0x401
	v_mul_f64_e32 v[85:86], v[63:64], v[29:30]
	ds_load_b128 v[67:70], v17 offset:2560
	ds_load_b128 v[71:74], v17 offset:3840
	v_mul_f64_e32 v[29:30], v[65:66], v[29:30]
	v_fma_f64 v[49:50], v[49:50], v[1:2], -v[75:76]
	v_fma_f64 v[53:54], v[53:54], v[5:6], -v[77:78]
	;; [unrolled: 1-line block ×4, first 2 shown]
	v_fma_f64 v[47:48], v[47:48], v[1:2], v[3:4]
	ds_load_b128 v[1:4], v17 offset:5120
	s_wait_loadcnt_dscnt 0x303
	v_mul_f64_e32 v[75:76], v[13:14], v[33:34]
	v_mul_f64_e32 v[33:34], v[11:12], v[33:34]
	v_fma_f64 v[9:10], v[55:56], v[9:10], v[83:84]
	s_wait_loadcnt_dscnt 0x202
	v_mul_f64_e32 v[55:56], v[69:70], v[37:38]
	v_mul_f64_e32 v[37:38], v[67:68], v[37:38]
	s_wait_loadcnt_dscnt 0x101
	v_mul_f64_e32 v[77:78], v[73:74], v[41:42]
	v_fma_f64 v[23:24], v[59:60], v[23:24], v[25:26]
	v_mul_f64_e32 v[25:26], v[71:72], v[41:42]
	v_fma_f64 v[5:6], v[51:52], v[5:6], v[7:8]
	v_fma_f64 v[7:8], v[65:66], v[27:28], -v[85:86]
	v_fma_f64 v[27:28], v[63:64], v[27:28], v[29:30]
	s_wait_loadcnt_dscnt 0x0
	v_mul_f64_e32 v[79:80], v[3:4], v[45:46]
	v_mul_f64_e32 v[41:42], v[1:2], v[45:46]
	v_add_f64_e32 v[45:46], v[49:50], v[53:54]
	v_add_f64_e32 v[51:52], v[57:58], v[61:62]
	v_fma_f64 v[11:12], v[11:12], v[31:32], v[75:76]
	v_fma_f64 v[13:14], v[13:14], v[31:32], -v[33:34]
	v_add_f64_e64 v[75:76], v[53:54], -v[61:62]
	v_fma_f64 v[31:32], v[67:68], v[35:36], v[55:56]
	v_fma_f64 v[33:34], v[69:70], v[35:36], -v[37:38]
	v_fma_f64 v[35:36], v[71:72], v[39:40], v[77:78]
	v_add_f64_e32 v[29:30], v[9:10], v[23:24]
	v_fma_f64 v[25:26], v[73:74], v[39:40], -v[25:26]
	v_add_f64_e64 v[55:56], v[47:48], -v[5:6]
	v_add_f64_e64 v[69:70], v[49:50], -v[53:54]
	;; [unrolled: 1-line block ×7, first 2 shown]
	v_fma_f64 v[37:38], v[1:2], v[43:44], v[79:80]
	v_fma_f64 v[39:40], v[3:4], v[43:44], -v[41:42]
	v_add_f64_e32 v[41:42], v[47:48], v[5:6]
	v_add_f64_e64 v[43:44], v[9:10], -v[23:24]
	v_add_f64_e64 v[79:80], v[61:62], -v[53:54]
	ds_load_b128 v[1:4], v21
	global_wb scope:SCOPE_SE
	s_wait_dscnt 0x0
	s_barrier_signal -1
	s_barrier_wait -1
	global_inv scope:SCOPE_SE
	v_fma_f64 v[45:46], v[45:46], -0.5, v[7:8]
	v_fma_f64 v[51:52], v[51:52], -0.5, v[7:8]
	v_add_f64_e32 v[7:8], v[7:8], v[49:50]
	v_add_f64_e64 v[49:50], v[23:24], -v[5:6]
	v_add_f64_e32 v[59:60], v[31:32], v[35:36]
	v_fma_f64 v[29:30], v[29:30], -0.5, v[27:28]
	v_add_f64_e32 v[65:66], v[33:34], v[25:26]
	v_add_f64_e32 v[85:86], v[1:2], v[11:12]
	;; [unrolled: 1-line block ×7, first 2 shown]
	v_fma_f64 v[41:42], v[41:42], -0.5, v[27:28]
	v_add_f64_e32 v[27:28], v[27:28], v[47:48]
	v_add_f64_e64 v[87:88], v[13:14], -v[39:40]
	v_add_f64_e64 v[47:48], v[9:10], -v[47:48]
	v_add_f64_e32 v[75:76], v[77:78], v[79:80]
	v_add_f64_e64 v[79:80], v[11:12], -v[37:38]
	v_add_f64_e64 v[93:94], v[39:40], -v[25:26]
	v_fma_f64 v[81:82], v[43:44], s[10:11], v[45:46]
	v_fma_f64 v[45:46], v[43:44], s[0:1], v[45:46]
	;; [unrolled: 1-line block ×4, first 2 shown]
	v_add_f64_e32 v[7:8], v[7:8], v[57:58]
	v_fma_f64 v[59:60], v[59:60], -0.5, v[1:2]
	v_fma_f64 v[1:2], v[63:64], -0.5, v[1:2]
	;; [unrolled: 1-line block ×4, first 2 shown]
	v_add_f64_e64 v[65:66], v[33:34], -v[25:26]
	v_fma_f64 v[67:68], v[69:70], s[10:11], v[29:30]
	v_fma_f64 v[29:30], v[69:70], s[0:1], v[29:30]
	;; [unrolled: 1-line block ×4, first 2 shown]
	v_add_f64_e32 v[9:10], v[27:28], v[9:10]
	v_add_f64_e64 v[27:28], v[35:36], -v[37:38]
	v_add_f64_e32 v[47:48], v[47:48], v[49:50]
	v_add_f64_e64 v[49:50], v[25:26], -v[39:40]
	v_fma_f64 v[81:82], v[55:56], s[2:3], v[81:82]
	v_fma_f64 v[45:46], v[55:56], s[12:13], v[45:46]
	;; [unrolled: 1-line block ×3, first 2 shown]
	v_add_f64_e64 v[55:56], v[31:32], -v[35:36]
	v_fma_f64 v[43:44], v[43:44], s[12:13], v[51:52]
	v_add_f64_e64 v[51:52], v[11:12], -v[31:32]
	v_add_f64_e64 v[11:12], v[31:32], -v[11:12]
	v_add_f64_e32 v[31:32], v[85:86], v[31:32]
	v_add_f64_e64 v[85:86], v[13:14], -v[33:34]
	v_add_f64_e64 v[13:14], v[33:34], -v[13:14]
	v_add_f64_e32 v[33:34], v[89:90], v[33:34]
	v_add_f64_e64 v[89:90], v[37:38], -v[35:36]
	v_fma_f64 v[57:58], v[87:88], s[10:11], v[59:60]
	v_fma_f64 v[59:60], v[87:88], s[0:1], v[59:60]
	v_add_f64_e32 v[7:8], v[7:8], v[61:62]
	v_fma_f64 v[67:68], v[71:72], s[12:13], v[67:68]
	v_fma_f64 v[29:30], v[71:72], s[2:3], v[29:30]
	;; [unrolled: 1-line block ×8, first 2 shown]
	v_add_f64_e32 v[9:10], v[9:10], v[23:24]
	v_fma_f64 v[81:82], v[75:76], s[6:7], v[81:82]
	v_fma_f64 v[45:46], v[75:76], s[6:7], v[45:46]
	;; [unrolled: 1-line block ×6, first 2 shown]
	v_add_f64_e32 v[11:12], v[11:12], v[27:28]
	v_add_f64_e32 v[31:32], v[31:32], v[35:36]
	;; [unrolled: 1-line block ×6, first 2 shown]
	v_fma_f64 v[23:24], v[65:66], s[12:13], v[57:58]
	v_fma_f64 v[33:34], v[65:66], s[2:3], v[59:60]
	v_add_f64_e32 v[7:8], v[7:8], v[53:54]
	v_fma_f64 v[59:60], v[91:92], s[6:7], v[67:68]
	v_fma_f64 v[29:30], v[91:92], s[6:7], v[29:30]
	;; [unrolled: 1-line block ×8, first 2 shown]
	v_add_f64_e32 v[5:6], v[9:10], v[5:6]
	v_mul_f64_e32 v[63:64], s[10:11], v[81:82]
	v_mul_f64_e32 v[71:72], s[6:7], v[81:82]
	;; [unrolled: 1-line block ×4, first 2 shown]
	v_fma_f64 v[57:58], v[79:80], s[2:3], v[75:76]
	v_fma_f64 v[3:4], v[79:80], s[12:13], v[3:4]
	v_mul_f64_e32 v[65:66], s[10:11], v[45:46]
	v_mul_f64_e32 v[45:46], s[16:17], v[45:46]
	;; [unrolled: 1-line block ×3, first 2 shown]
	s_wait_alu 0xfffe
	v_mul_f64_e32 v[43:44], s[18:19], v[43:44]
	v_add_f64_e32 v[31:32], v[31:32], v[37:38]
	v_add_f64_e32 v[25:26], v[25:26], v[39:40]
	v_fma_f64 v[37:38], v[51:52], s[6:7], v[23:24]
	v_fma_f64 v[51:52], v[51:52], s[6:7], v[33:34]
	;; [unrolled: 1-line block ×16, first 2 shown]
	v_add_f64_e32 v[1:2], v[31:32], v[5:6]
	v_add_f64_e32 v[3:4], v[25:26], v[7:8]
	v_add_f64_e64 v[7:8], v[25:26], -v[7:8]
	v_add_f64_e64 v[5:6], v[31:32], -v[5:6]
	v_add_f64_e32 v[9:10], v[37:38], v[35:36]
	v_add_f64_e32 v[11:12], v[49:50], v[59:60]
	v_add_f64_e64 v[35:36], v[37:38], -v[35:36]
	v_add_f64_e32 v[23:24], v[39:40], v[47:48]
	v_add_f64_e32 v[25:26], v[57:58], v[61:62]
	;; [unrolled: 3-line block ×3, first 2 shown]
	v_add_f64_e32 v[31:32], v[51:52], v[65:66]
	v_add_f64_e32 v[33:34], v[55:56], v[67:68]
	v_add_f64_e64 v[39:40], v[39:40], -v[47:48]
	v_add_f64_e64 v[41:42], v[57:58], -v[61:62]
	;; [unrolled: 1-line block ×6, first 2 shown]
	v_lshrrev_b32_e32 v13, 2, v16
	s_delay_alu instid0(VALU_DEP_1) | instskip(NEXT) | instid1(VALU_DEP_1)
	v_mul_u32_u24_e32 v13, 40, v13
	v_or_b32_e32 v0, v13, v0
	v_mul_u32_u24_e32 v13, 9, v16
	s_delay_alu instid0(VALU_DEP_2) | instskip(NEXT) | instid1(VALU_DEP_2)
	v_lshlrev_b32_e32 v0, 4, v0
	v_lshlrev_b32_e32 v51, 4, v13
	s_delay_alu instid0(VALU_DEP_2)
	v_add3_u32 v0, 0, v0, v22
	ds_store_b128 v0, v[1:4]
	ds_store_b128 v0, v[9:12] offset:64
	ds_store_b128 v0, v[23:26] offset:128
	;; [unrolled: 1-line block ×9, first 2 shown]
	global_wb scope:SCOPE_SE
	s_wait_dscnt 0x0
	s_barrier_signal -1
	s_barrier_wait -1
	global_inv scope:SCOPE_SE
	s_clause 0x8
	global_load_b128 v[0:3], v51, s[4:5] offset:608
	global_load_b128 v[4:7], v51, s[4:5] offset:640
	global_load_b128 v[8:11], v51, s[4:5] offset:672
	global_load_b128 v[12:15], v51, s[4:5] offset:704
	global_load_b128 v[22:25], v51, s[4:5] offset:576
	global_load_b128 v[26:29], v51, s[4:5] offset:592
	global_load_b128 v[30:33], v51, s[4:5] offset:624
	global_load_b128 v[34:37], v51, s[4:5] offset:656
	global_load_b128 v[38:41], v51, s[4:5] offset:688
	ds_load_b128 v[42:45], v17 offset:1920
	ds_load_b128 v[46:49], v17 offset:3200
	;; [unrolled: 1-line block ×9, first 2 shown]
	s_wait_loadcnt_dscnt 0x808
	v_mul_f64_e32 v[78:79], v[44:45], v[2:3]
	v_mul_f64_e32 v[2:3], v[42:43], v[2:3]
	s_wait_loadcnt_dscnt 0x707
	v_mul_f64_e32 v[80:81], v[46:47], v[6:7]
	s_wait_loadcnt_dscnt 0x606
	;; [unrolled: 2-line block ×3, first 2 shown]
	v_mul_f64_e32 v[84:85], v[54:55], v[14:15]
	v_mul_f64_e32 v[6:7], v[48:49], v[6:7]
	;; [unrolled: 1-line block ×4, first 2 shown]
	v_fma_f64 v[42:43], v[42:43], v[0:1], v[78:79]
	v_fma_f64 v[44:45], v[44:45], v[0:1], -v[2:3]
	s_wait_loadcnt_dscnt 0x404
	v_mul_f64_e32 v[0:1], v[58:59], v[24:25]
	v_fma_f64 v[48:49], v[48:49], v[4:5], -v[80:81]
	v_fma_f64 v[52:53], v[52:53], v[8:9], -v[82:83]
	;; [unrolled: 1-line block ×3, first 2 shown]
	s_wait_loadcnt_dscnt 0x303
	v_mul_f64_e32 v[2:3], v[64:65], v[28:29]
	v_mul_f64_e32 v[28:29], v[62:63], v[28:29]
	s_wait_loadcnt_dscnt 0x202
	v_mul_f64_e32 v[78:79], v[68:69], v[32:33]
	v_fma_f64 v[4:5], v[46:47], v[4:5], v[6:7]
	v_mul_f64_e32 v[6:7], v[66:67], v[32:33]
	s_wait_loadcnt_dscnt 0x101
	v_mul_f64_e32 v[32:33], v[72:73], v[36:37]
	v_mul_f64_e32 v[36:37], v[70:71], v[36:37]
	s_wait_loadcnt_dscnt 0x0
	v_mul_f64_e32 v[46:47], v[76:77], v[40:41]
	v_fma_f64 v[8:9], v[50:51], v[8:9], v[10:11]
	v_mul_f64_e32 v[10:11], v[74:75], v[40:41]
	v_mul_f64_e32 v[24:25], v[60:61], v[24:25]
	v_fma_f64 v[12:13], v[54:55], v[12:13], v[14:15]
	v_fma_f64 v[14:15], v[60:61], v[22:23], -v[0:1]
	v_add_f64_e32 v[0:1], v[48:49], v[52:53]
	v_add_f64_e32 v[40:41], v[44:45], v[56:57]
	v_fma_f64 v[50:51], v[62:63], v[26:27], v[2:3]
	v_fma_f64 v[26:27], v[64:65], v[26:27], -v[28:29]
	v_fma_f64 v[28:29], v[66:67], v[30:31], v[78:79]
	v_add_f64_e64 v[66:67], v[44:45], -v[56:57]
	v_fma_f64 v[6:7], v[68:69], v[30:31], -v[6:7]
	v_fma_f64 v[30:31], v[70:71], v[34:35], v[32:33]
	v_fma_f64 v[34:35], v[72:73], v[34:35], -v[36:37]
	v_fma_f64 v[32:33], v[74:75], v[38:39], v[46:47]
	v_add_f64_e64 v[46:47], v[4:5], -v[8:9]
	v_fma_f64 v[10:11], v[76:77], v[38:39], -v[10:11]
	v_fma_f64 v[22:23], v[58:59], v[22:23], v[24:25]
	v_add_f64_e32 v[24:25], v[4:5], v[8:9]
	v_add_f64_e32 v[36:37], v[42:43], v[12:13]
	v_add_f64_e64 v[38:39], v[42:43], -v[12:13]
	v_add_f64_e64 v[68:69], v[48:49], -v[52:53]
	;; [unrolled: 1-line block ×8, first 2 shown]
	v_fma_f64 v[54:55], v[0:1], -0.5, v[14:15]
	v_fma_f64 v[40:41], v[40:41], -0.5, v[14:15]
	ds_load_b128 v[0:3], v21
	v_add_f64_e32 v[14:15], v[14:15], v[44:45]
	v_add_f64_e64 v[44:45], v[8:9], -v[12:13]
	global_wb scope:SCOPE_SE
	s_wait_dscnt 0x0
	s_barrier_signal -1
	v_add_f64_e32 v[58:59], v[28:29], v[30:31]
	v_add_f64_e32 v[62:63], v[6:7], v[34:35]
	;; [unrolled: 1-line block ×3, first 2 shown]
	v_add_f64_e64 v[86:87], v[6:7], -v[34:35]
	v_add_f64_e32 v[64:65], v[26:27], v[10:11]
	v_add_f64_e64 v[84:85], v[26:27], -v[10:11]
	v_fma_f64 v[24:25], v[24:25], -0.5, v[22:23]
	v_fma_f64 v[36:37], v[36:37], -0.5, v[22:23]
	v_add_f64_e32 v[21:22], v[22:23], v[42:43]
	v_add_f64_e64 v[42:43], v[4:5], -v[42:43]
	s_barrier_wait -1
	v_add_f64_e32 v[70:71], v[70:71], v[72:73]
	global_inv scope:SCOPE_SE
	v_add_f64_e32 v[72:73], v[74:75], v[76:77]
	v_add_f64_e64 v[76:77], v[28:29], -v[30:31]
	v_add_f64_e32 v[82:83], v[0:1], v[50:51]
	v_add_f64_e32 v[88:89], v[2:3], v[26:27]
	;; [unrolled: 1-line block ×3, first 2 shown]
	v_add_f64_e64 v[92:93], v[34:35], -v[10:11]
	v_fma_f64 v[78:79], v[38:39], s[0:1], v[54:55]
	v_fma_f64 v[80:81], v[46:47], s[10:11], v[40:41]
	;; [unrolled: 1-line block ×4, first 2 shown]
	v_add_f64_e32 v[14:15], v[14:15], v[48:49]
	v_fma_f64 v[58:59], v[58:59], -0.5, v[0:1]
	v_fma_f64 v[0:1], v[60:61], -0.5, v[0:1]
	;; [unrolled: 1-line block ×4, first 2 shown]
	v_add_f64_e64 v[62:63], v[50:51], -v[32:33]
	v_fma_f64 v[64:65], v[66:67], s[10:11], v[24:25]
	v_fma_f64 v[23:24], v[66:67], s[0:1], v[24:25]
	;; [unrolled: 1-line block ×4, first 2 shown]
	v_add_f64_e32 v[4:5], v[21:22], v[4:5]
	v_add_f64_e64 v[21:22], v[10:11], -v[34:35]
	v_add_f64_e32 v[42:43], v[42:43], v[44:45]
	v_fma_f64 v[78:79], v[46:47], s[2:3], v[78:79]
	v_fma_f64 v[80:81], v[38:39], s[2:3], v[80:81]
	;; [unrolled: 1-line block ×4, first 2 shown]
	v_add_f64_e64 v[46:47], v[50:51], -v[28:29]
	v_add_f64_e64 v[50:51], v[28:29], -v[50:51]
	v_add_f64_e32 v[28:29], v[82:83], v[28:29]
	v_add_f64_e64 v[82:83], v[26:27], -v[6:7]
	v_add_f64_e64 v[25:26], v[6:7], -v[26:27]
	v_add_f64_e32 v[6:7], v[88:89], v[6:7]
	v_add_f64_e64 v[54:55], v[32:33], -v[30:31]
	v_fma_f64 v[44:45], v[84:85], s[10:11], v[58:59]
	v_fma_f64 v[48:49], v[84:85], s[0:1], v[58:59]
	;; [unrolled: 1-line block ×9, first 2 shown]
	v_add_f64_e64 v[88:89], v[30:31], -v[32:33]
	v_fma_f64 v[60:61], v[62:63], s[10:11], v[60:61]
	v_fma_f64 v[0:1], v[86:87], s[10:11], v[0:1]
	;; [unrolled: 1-line block ×3, first 2 shown]
	v_add_f64_e32 v[4:5], v[4:5], v[8:9]
	v_add_f64_e32 v[8:9], v[14:15], v[52:53]
	v_fma_f64 v[78:79], v[70:71], s[6:7], v[78:79]
	v_fma_f64 v[80:81], v[72:73], s[6:7], v[80:81]
	;; [unrolled: 1-line block ×4, first 2 shown]
	v_add_f64_e32 v[27:28], v[28:29], v[30:31]
	v_add_f64_e32 v[21:22], v[82:83], v[21:22]
	;; [unrolled: 1-line block ×5, first 2 shown]
	v_fma_f64 v[14:15], v[86:87], s[12:13], v[44:45]
	v_fma_f64 v[29:30], v[86:87], s[2:3], v[48:49]
	;; [unrolled: 1-line block ×9, first 2 shown]
	v_add_f64_e32 v[50:51], v[50:51], v[88:89]
	v_fma_f64 v[48:49], v[76:77], s[12:13], v[60:61]
	v_fma_f64 v[0:1], v[84:85], s[2:3], v[0:1]
	;; [unrolled: 1-line block ×3, first 2 shown]
	v_add_f64_e32 v[4:5], v[4:5], v[12:13]
	v_add_f64_e32 v[8:9], v[8:9], v[56:57]
	v_mul_f64_e32 v[42:43], s[12:13], v[78:79]
	v_mul_f64_e32 v[66:67], s[14:15], v[78:79]
	;; [unrolled: 1-line block ×8, first 2 shown]
	v_add_f64_e32 v[27:28], v[27:28], v[32:33]
	v_add_f64_e32 v[6:7], v[6:7], v[10:11]
	v_fma_f64 v[31:32], v[46:47], s[6:7], v[14:15]
	v_fma_f64 v[46:47], v[46:47], s[6:7], v[29:30]
	;; [unrolled: 1-line block ×16, first 2 shown]
	v_add_f64_e32 v[0:1], v[27:28], v[4:5]
	v_add_f64_e32 v[2:3], v[6:7], v[8:9]
	v_add_f64_e64 v[6:7], v[6:7], -v[8:9]
	v_add_f64_e64 v[4:5], v[27:28], -v[4:5]
	v_add_f64_e32 v[8:9], v[31:32], v[29:30]
	v_add_f64_e32 v[10:11], v[44:45], v[54:55]
	;; [unrolled: 1-line block ×8, first 2 shown]
	v_add_f64_e64 v[29:30], v[31:32], -v[29:30]
	v_add_f64_e64 v[31:32], v[44:45], -v[54:55]
	;; [unrolled: 1-line block ×8, first 2 shown]
	ds_store_b128 v17, v[0:3]
	ds_store_b128 v17, v[8:11] offset:640
	ds_store_b128 v17, v[12:15] offset:1280
	;; [unrolled: 1-line block ×9, first 2 shown]
	global_wb scope:SCOPE_SE
	s_wait_dscnt 0x0
	s_barrier_signal -1
	s_barrier_wait -1
	global_inv scope:SCOPE_SE
	s_and_saveexec_b32 s0, vcc_lo
	s_cbranch_execz .LBB0_20
; %bb.19:
	v_dual_mov_b32 v17, 0 :: v_dual_add_nc_u32 v8, 40, v16
	v_add_co_u32 v37, vcc_lo, s8, v18
	v_lshl_add_u32 v36, v16, 4, v20
	s_delay_alu instid0(VALU_DEP_3) | instskip(SKIP_4) | instid1(VALU_DEP_4)
	v_lshlrev_b64_e32 v[0:1], 4, v[16:17]
	s_wait_alu 0xfffd
	v_add_co_ci_u32_e32 v38, vcc_lo, s9, v19, vcc_lo
	v_dual_mov_b32 v9, v17 :: v_dual_add_nc_u32 v10, 0x50, v16
	v_dual_mov_b32 v11, v17 :: v_dual_add_nc_u32 v24, 0x78, v16
	v_add_co_u32 v18, vcc_lo, v37, v0
	s_wait_alu 0xfffd
	v_add_co_ci_u32_e32 v19, vcc_lo, v38, v1, vcc_lo
	ds_load_b128 v[0:3], v36
	ds_load_b128 v[4:7], v36 offset:640
	v_lshlrev_b64_e32 v[20:21], 4, v[8:9]
	v_lshlrev_b64_e32 v[22:23], 4, v[10:11]
	ds_load_b128 v[8:11], v36 offset:1280
	ds_load_b128 v[12:15], v36 offset:1920
	v_dual_mov_b32 v25, v17 :: v_dual_add_nc_u32 v26, 0xa0, v16
	v_mov_b32_e32 v27, v17
	v_add_co_u32 v20, vcc_lo, v37, v20
	s_delay_alu instid0(VALU_DEP_3)
	v_lshlrev_b64_e32 v[24:25], 4, v[24:25]
	s_wait_alu 0xfffd
	v_add_co_ci_u32_e32 v21, vcc_lo, v38, v21, vcc_lo
	v_add_co_u32 v22, vcc_lo, v37, v22
	s_wait_alu 0xfffd
	v_add_co_ci_u32_e32 v23, vcc_lo, v38, v23, vcc_lo
	v_add_co_u32 v24, vcc_lo, v37, v24
	s_wait_dscnt 0x3
	global_store_b128 v[18:19], v[0:3], off
	s_wait_dscnt 0x2
	global_store_b128 v[20:21], v[4:7], off
	v_dual_mov_b32 v3, v17 :: v_dual_add_nc_u32 v2, 0xc8, v16
	s_wait_alu 0xfffd
	v_add_co_ci_u32_e32 v25, vcc_lo, v38, v25, vcc_lo
	v_lshlrev_b64_e32 v[0:1], 4, v[26:27]
	s_wait_dscnt 0x1
	global_store_b128 v[22:23], v[8:11], off
	s_wait_dscnt 0x0
	global_store_b128 v[24:25], v[12:15], off
	v_add_nc_u32_e32 v10, 0xf0, v16
	v_lshlrev_b64_e32 v[8:9], 4, v[2:3]
	v_dual_mov_b32 v11, v17 :: v_dual_add_nc_u32 v18, 0x118, v16
	v_add_co_u32 v26, vcc_lo, v37, v0
	s_wait_alu 0xfffd
	v_add_co_ci_u32_e32 v27, vcc_lo, v38, v1, vcc_lo
	s_delay_alu instid0(VALU_DEP_4)
	v_add_co_u32 v28, vcc_lo, v37, v8
	s_wait_alu 0xfffd
	v_add_co_ci_u32_e32 v29, vcc_lo, v38, v9, vcc_lo
	v_lshlrev_b64_e32 v[8:9], 4, v[10:11]
	v_dual_mov_b32 v19, v17 :: v_dual_add_nc_u32 v20, 0x140, v16
	v_dual_mov_b32 v21, v17 :: v_dual_add_nc_u32 v16, 0x168, v16
	ds_load_b128 v[0:3], v36 offset:2560
	ds_load_b128 v[4:7], v36 offset:3200
	v_add_co_u32 v30, vcc_lo, v37, v8
	s_wait_alu 0xfffd
	v_add_co_ci_u32_e32 v31, vcc_lo, v38, v9, vcc_lo
	ds_load_b128 v[8:11], v36 offset:3840
	ds_load_b128 v[12:15], v36 offset:4480
	v_lshlrev_b64_e32 v[32:33], 4, v[18:19]
	v_lshlrev_b64_e32 v[34:35], 4, v[20:21]
	ds_load_b128 v[18:21], v36 offset:5120
	ds_load_b128 v[22:25], v36 offset:5760
	v_lshlrev_b64_e32 v[16:17], 4, v[16:17]
	v_add_co_u32 v32, vcc_lo, v37, v32
	s_wait_alu 0xfffd
	v_add_co_ci_u32_e32 v33, vcc_lo, v38, v33, vcc_lo
	v_add_co_u32 v34, vcc_lo, v37, v34
	s_wait_alu 0xfffd
	v_add_co_ci_u32_e32 v35, vcc_lo, v38, v35, vcc_lo
	;; [unrolled: 3-line block ×3, first 2 shown]
	s_wait_dscnt 0x5
	global_store_b128 v[26:27], v[0:3], off
	s_wait_dscnt 0x4
	global_store_b128 v[28:29], v[4:7], off
	;; [unrolled: 2-line block ×6, first 2 shown]
.LBB0_20:
	s_nop 0
	s_sendmsg sendmsg(MSG_DEALLOC_VGPRS)
	s_endpgm
	.section	.rodata,"a",@progbits
	.p2align	6, 0x0
	.amdhsa_kernel fft_rtc_back_len400_factors_4_10_10_wgs_120_tpt_40_halfLds_dp_ip_CI_unitstride_sbrr_C2R_dirReg
		.amdhsa_group_segment_fixed_size 0
		.amdhsa_private_segment_fixed_size 0
		.amdhsa_kernarg_size 88
		.amdhsa_user_sgpr_count 2
		.amdhsa_user_sgpr_dispatch_ptr 0
		.amdhsa_user_sgpr_queue_ptr 0
		.amdhsa_user_sgpr_kernarg_segment_ptr 1
		.amdhsa_user_sgpr_dispatch_id 0
		.amdhsa_user_sgpr_private_segment_size 0
		.amdhsa_wavefront_size32 1
		.amdhsa_uses_dynamic_stack 0
		.amdhsa_enable_private_segment 0
		.amdhsa_system_sgpr_workgroup_id_x 1
		.amdhsa_system_sgpr_workgroup_id_y 0
		.amdhsa_system_sgpr_workgroup_id_z 0
		.amdhsa_system_sgpr_workgroup_info 0
		.amdhsa_system_vgpr_workitem_id 0
		.amdhsa_next_free_vgpr 95
		.amdhsa_next_free_sgpr 32
		.amdhsa_reserve_vcc 1
		.amdhsa_float_round_mode_32 0
		.amdhsa_float_round_mode_16_64 0
		.amdhsa_float_denorm_mode_32 3
		.amdhsa_float_denorm_mode_16_64 3
		.amdhsa_fp16_overflow 0
		.amdhsa_workgroup_processor_mode 1
		.amdhsa_memory_ordered 1
		.amdhsa_forward_progress 0
		.amdhsa_round_robin_scheduling 0
		.amdhsa_exception_fp_ieee_invalid_op 0
		.amdhsa_exception_fp_denorm_src 0
		.amdhsa_exception_fp_ieee_div_zero 0
		.amdhsa_exception_fp_ieee_overflow 0
		.amdhsa_exception_fp_ieee_underflow 0
		.amdhsa_exception_fp_ieee_inexact 0
		.amdhsa_exception_int_div_zero 0
	.end_amdhsa_kernel
	.text
.Lfunc_end0:
	.size	fft_rtc_back_len400_factors_4_10_10_wgs_120_tpt_40_halfLds_dp_ip_CI_unitstride_sbrr_C2R_dirReg, .Lfunc_end0-fft_rtc_back_len400_factors_4_10_10_wgs_120_tpt_40_halfLds_dp_ip_CI_unitstride_sbrr_C2R_dirReg
                                        ; -- End function
	.section	.AMDGPU.csdata,"",@progbits
; Kernel info:
; codeLenInByte = 7428
; NumSgprs: 34
; NumVgprs: 95
; ScratchSize: 0
; MemoryBound: 0
; FloatMode: 240
; IeeeMode: 1
; LDSByteSize: 0 bytes/workgroup (compile time only)
; SGPRBlocks: 4
; VGPRBlocks: 11
; NumSGPRsForWavesPerEU: 34
; NumVGPRsForWavesPerEU: 95
; Occupancy: 16
; WaveLimiterHint : 1
; COMPUTE_PGM_RSRC2:SCRATCH_EN: 0
; COMPUTE_PGM_RSRC2:USER_SGPR: 2
; COMPUTE_PGM_RSRC2:TRAP_HANDLER: 0
; COMPUTE_PGM_RSRC2:TGID_X_EN: 1
; COMPUTE_PGM_RSRC2:TGID_Y_EN: 0
; COMPUTE_PGM_RSRC2:TGID_Z_EN: 0
; COMPUTE_PGM_RSRC2:TIDIG_COMP_CNT: 0
	.text
	.p2alignl 7, 3214868480
	.fill 96, 4, 3214868480
	.type	__hip_cuid_2780d514f7d7a373,@object ; @__hip_cuid_2780d514f7d7a373
	.section	.bss,"aw",@nobits
	.globl	__hip_cuid_2780d514f7d7a373
__hip_cuid_2780d514f7d7a373:
	.byte	0                               ; 0x0
	.size	__hip_cuid_2780d514f7d7a373, 1

	.ident	"AMD clang version 19.0.0git (https://github.com/RadeonOpenCompute/llvm-project roc-6.4.0 25133 c7fe45cf4b819c5991fe208aaa96edf142730f1d)"
	.section	".note.GNU-stack","",@progbits
	.addrsig
	.addrsig_sym __hip_cuid_2780d514f7d7a373
	.amdgpu_metadata
---
amdhsa.kernels:
  - .args:
      - .actual_access:  read_only
        .address_space:  global
        .offset:         0
        .size:           8
        .value_kind:     global_buffer
      - .offset:         8
        .size:           8
        .value_kind:     by_value
      - .actual_access:  read_only
        .address_space:  global
        .offset:         16
        .size:           8
        .value_kind:     global_buffer
      - .actual_access:  read_only
        .address_space:  global
        .offset:         24
        .size:           8
        .value_kind:     global_buffer
      - .offset:         32
        .size:           8
        .value_kind:     by_value
      - .actual_access:  read_only
        .address_space:  global
        .offset:         40
        .size:           8
        .value_kind:     global_buffer
      - .actual_access:  read_only
        .address_space:  global
        .offset:         48
        .size:           8
        .value_kind:     global_buffer
      - .offset:         56
        .size:           4
        .value_kind:     by_value
      - .actual_access:  read_only
        .address_space:  global
        .offset:         64
        .size:           8
        .value_kind:     global_buffer
      - .actual_access:  read_only
        .address_space:  global
        .offset:         72
        .size:           8
        .value_kind:     global_buffer
      - .address_space:  global
        .offset:         80
        .size:           8
        .value_kind:     global_buffer
    .group_segment_fixed_size: 0
    .kernarg_segment_align: 8
    .kernarg_segment_size: 88
    .language:       OpenCL C
    .language_version:
      - 2
      - 0
    .max_flat_workgroup_size: 120
    .name:           fft_rtc_back_len400_factors_4_10_10_wgs_120_tpt_40_halfLds_dp_ip_CI_unitstride_sbrr_C2R_dirReg
    .private_segment_fixed_size: 0
    .sgpr_count:     34
    .sgpr_spill_count: 0
    .symbol:         fft_rtc_back_len400_factors_4_10_10_wgs_120_tpt_40_halfLds_dp_ip_CI_unitstride_sbrr_C2R_dirReg.kd
    .uniform_work_group_size: 1
    .uses_dynamic_stack: false
    .vgpr_count:     95
    .vgpr_spill_count: 0
    .wavefront_size: 32
    .workgroup_processor_mode: 1
amdhsa.target:   amdgcn-amd-amdhsa--gfx1201
amdhsa.version:
  - 1
  - 2
...

	.end_amdgpu_metadata
